;; amdgpu-corpus repo=ROCm/rocFFT kind=compiled arch=gfx906 opt=O3
	.text
	.amdgcn_target "amdgcn-amd-amdhsa--gfx906"
	.amdhsa_code_object_version 6
	.protected	bluestein_single_back_len343_dim1_sp_op_CI_CI ; -- Begin function bluestein_single_back_len343_dim1_sp_op_CI_CI
	.globl	bluestein_single_back_len343_dim1_sp_op_CI_CI
	.p2align	8
	.type	bluestein_single_back_len343_dim1_sp_op_CI_CI,@function
bluestein_single_back_len343_dim1_sp_op_CI_CI: ; @bluestein_single_back_len343_dim1_sp_op_CI_CI
; %bb.0:
	v_mul_u32_u24_e32 v1, 0x53a, v0
	s_load_dwordx4 s[12:15], s[4:5], 0x28
	v_lshrrev_b32_e32 v1, 16, v1
	v_mad_u64_u32 v[24:25], s[0:1], s6, 5, v[1:2]
	v_mov_b32_e32 v25, 0
	s_waitcnt lgkmcnt(0)
	v_cmp_gt_u64_e32 vcc, s[12:13], v[24:25]
	s_and_saveexec_b64 s[0:1], vcc
	s_cbranch_execz .LBB0_2
; %bb.1:
	s_load_dwordx4 s[0:3], s[4:5], 0x18
	s_load_dwordx4 s[8:11], s[4:5], 0x0
	v_mul_lo_u16_e32 v1, 49, v1
	v_sub_u16_e32 v40, v0, v1
	v_mov_b32_e32 v7, s15
	s_waitcnt lgkmcnt(0)
	s_load_dwordx4 s[16:19], s[0:1], 0x0
	s_add_u32 s6, s8, 0xab8
	s_addc_u32 s7, s9, 0
	v_lshlrev_b32_e32 v42, 3, v40
	global_load_dwordx2 v[35:36], v42, s[8:9]
	s_waitcnt lgkmcnt(0)
	v_mad_u64_u32 v[0:1], s[0:1], s18, v24, 0
	v_mad_u64_u32 v[2:3], s[0:1], s16, v40, 0
	s_mov_b32 s13, 0x3f3bfb3b
	s_mov_b32 s12, 0xbf3bfb3b
	v_mad_u64_u32 v[4:5], s[0:1], s19, v24, v[1:2]
	v_mad_u64_u32 v[5:6], s[0:1], s17, v40, v[3:4]
	v_mov_b32_e32 v1, v4
	v_lshlrev_b64 v[0:1], 3, v[0:1]
	v_mov_b32_e32 v3, v5
	v_add_co_u32_e32 v4, vcc, s14, v0
	v_addc_co_u32_e32 v5, vcc, v7, v1, vcc
	v_lshlrev_b64 v[0:1], 3, v[2:3]
	s_mul_i32 s0, s17, 0x188
	v_add_co_u32_e32 v0, vcc, v4, v0
	s_mul_hi_u32 s1, s16, 0x188
	v_addc_co_u32_e32 v1, vcc, v5, v1, vcc
	s_add_i32 s0, s1, s0
	s_mul_i32 s1, s16, 0x188
	global_load_dwordx2 v[2:3], v[0:1], off
	v_mov_b32_e32 v4, s0
	v_add_co_u32_e32 v0, vcc, s1, v0
	v_addc_co_u32_e32 v1, vcc, v1, v4, vcc
	v_mov_b32_e32 v5, s0
	v_add_co_u32_e32 v4, vcc, s1, v0
	v_addc_co_u32_e32 v5, vcc, v1, v5, vcc
	global_load_dwordx2 v[6:7], v[0:1], off
	global_load_dwordx2 v[8:9], v[4:5], off
	v_mov_b32_e32 v1, s0
	v_add_co_u32_e32 v0, vcc, s1, v4
	v_addc_co_u32_e32 v1, vcc, v5, v1, vcc
	v_mov_b32_e32 v5, s0
	v_add_co_u32_e32 v4, vcc, s1, v0
	v_addc_co_u32_e32 v5, vcc, v1, v5, vcc
	global_load_dwordx2 v[37:38], v42, s[8:9] offset:392
	global_load_dwordx2 v[33:34], v42, s[8:9] offset:784
	;; [unrolled: 1-line block ×3, first 2 shown]
	global_load_dwordx2 v[10:11], v[0:1], off
	global_load_dwordx2 v[12:13], v[4:5], off
	global_load_dwordx2 v[29:30], v42, s[8:9] offset:1568
	v_mov_b32_e32 v1, s0
	v_add_co_u32_e32 v0, vcc, s1, v4
	v_addc_co_u32_e32 v1, vcc, v5, v1, vcc
	global_load_dwordx2 v[4:5], v[0:1], off
	global_load_dwordx2 v[27:28], v42, s[8:9] offset:1960
	v_mov_b32_e32 v14, s0
	v_add_co_u32_e32 v0, vcc, s1, v0
	v_addc_co_u32_e32 v1, vcc, v1, v14, vcc
	global_load_dwordx2 v[25:26], v42, s[8:9] offset:2352
	global_load_dwordx2 v[14:15], v[0:1], off
	s_mov_b32 s0, 0xcccccccd
	v_mul_hi_u32 v0, v24, s0
	s_load_dwordx4 s[0:3], s[2:3], 0x0
	s_mov_b32 s14, 0x3f5ff5aa
	v_lshrrev_b32_e32 v0, 2, v0
	v_lshl_add_u32 v0, v0, 2, v0
	v_sub_u32_e32 v0, v24, v0
	v_mul_u32_u24_e32 v0, 0x157, v0
	v_lshlrev_b32_e32 v46, 3, v0
	v_add_u32_e32 v39, v42, v46
	s_waitcnt vmcnt(12)
	v_mul_f32_e32 v0, v3, v36
	v_mul_f32_e32 v1, v2, v36
	v_fmac_f32_e32 v0, v2, v35
	v_fma_f32 v1, v3, v35, -v1
	s_waitcnt vmcnt(9)
	v_mul_f32_e32 v2, v7, v38
	v_mul_f32_e32 v3, v6, v38
	v_fmac_f32_e32 v2, v6, v37
	v_fma_f32 v3, v7, v37, -v3
	s_waitcnt vmcnt(8)
	v_mul_f32_e32 v6, v9, v34
	v_mul_f32_e32 v7, v8, v34
	ds_write2_b64 v39, v[0:1], v[2:3] offset1:49
	s_waitcnt vmcnt(6)
	v_mul_f32_e32 v0, v11, v32
	v_mul_f32_e32 v1, v10, v32
	v_fmac_f32_e32 v6, v8, v33
	v_fma_f32 v7, v9, v33, -v7
	v_fmac_f32_e32 v0, v10, v31
	v_fma_f32 v1, v11, v31, -v1
	s_waitcnt vmcnt(4)
	v_mul_f32_e32 v2, v13, v30
	v_mul_f32_e32 v3, v12, v30
	ds_write2_b64 v39, v[6:7], v[0:1] offset0:98 offset1:147
	s_waitcnt vmcnt(2)
	v_mul_f32_e32 v0, v5, v28
	v_mul_f32_e32 v1, v4, v28
	v_fmac_f32_e32 v2, v12, v29
	v_fma_f32 v3, v13, v29, -v3
	v_fmac_f32_e32 v0, v4, v27
	v_fma_f32 v1, v5, v27, -v1
	ds_write2_b64 v39, v[2:3], v[0:1] offset0:196 offset1:245
	s_waitcnt vmcnt(0)
	v_mul_f32_e32 v0, v15, v26
	v_mul_f32_e32 v1, v14, v26
	v_fmac_f32_e32 v0, v14, v25
	v_fma_f32 v1, v15, v25, -v1
	ds_write_b64 v39, v[0:1] offset:2352
	s_waitcnt lgkmcnt(0)
	s_barrier
	ds_read2_b64 v[0:3], v39 offset1:49
	ds_read_b64 v[12:13], v39 offset:2352
	ds_read2_b64 v[4:7], v39 offset0:98 offset1:147
	ds_read2_b64 v[8:11], v39 offset0:196 offset1:245
	s_waitcnt lgkmcnt(0)
	s_barrier
	v_add_f32_e32 v14, v2, v12
	v_sub_f32_e32 v2, v2, v12
	v_add_f32_e32 v12, v4, v10
	v_add_f32_e32 v15, v3, v13
	v_sub_f32_e32 v3, v3, v13
	v_add_f32_e32 v13, v5, v11
	v_sub_f32_e32 v4, v4, v10
	;; [unrolled: 2-line block ×5, first 2 shown]
	v_add_f32_e32 v9, v13, v15
	v_add_f32_e32 v8, v10, v8
	;; [unrolled: 1-line block ×4, first 2 shown]
	v_sub_f32_e32 v16, v12, v14
	v_sub_f32_e32 v17, v13, v15
	v_sub_f32_e32 v14, v14, v10
	v_sub_f32_e32 v15, v15, v11
	v_sub_f32_e32 v12, v10, v12
	v_sub_f32_e32 v13, v11, v13
	v_add_f32_e32 v1, v9, v1
	v_mov_b32_e32 v22, v0
	v_add_f32_e32 v18, v6, v4
	v_add_f32_e32 v19, v7, v5
	v_sub_f32_e32 v20, v6, v4
	v_sub_f32_e32 v21, v7, v5
	;; [unrolled: 1-line block ×4, first 2 shown]
	v_mul_f32_e32 v10, 0x3f4a47b2, v14
	v_mul_f32_e32 v11, 0x3f4a47b2, v15
	v_mul_f32_e32 v14, 0x3d64c772, v12
	v_mul_f32_e32 v15, 0x3d64c772, v13
	v_fmac_f32_e32 v22, 0xbf955555, v8
	v_mov_b32_e32 v8, v1
	v_sub_f32_e32 v6, v2, v6
	v_sub_f32_e32 v7, v3, v7
	v_add_f32_e32 v2, v18, v2
	v_add_f32_e32 v3, v19, v3
	v_mul_f32_e32 v18, 0xbf08b237, v20
	v_mul_f32_e32 v19, 0xbf08b237, v21
	;; [unrolled: 1-line block ×4, first 2 shown]
	v_fmac_f32_e32 v8, 0xbf955555, v9
	v_fma_f32 v9, v16, s13, -v14
	v_fma_f32 v14, v17, s13, -v15
	;; [unrolled: 1-line block ×3, first 2 shown]
	v_fmac_f32_e32 v10, 0x3d64c772, v12
	v_fma_f32 v12, v17, s12, -v11
	v_fmac_f32_e32 v11, 0x3d64c772, v13
	v_fma_f32 v13, v4, s14, -v18
	;; [unrolled: 2-line block ×3, first 2 shown]
	v_fmac_f32_e32 v19, 0x3eae86e6, v7
	v_fmac_f32_e32 v20, 0xbeae86e6, v6
	;; [unrolled: 1-line block ×3, first 2 shown]
	v_add_f32_e32 v17, v10, v22
	v_add_f32_e32 v10, v14, v8
	v_mul_lo_u16_e32 v14, 7, v40
	v_add_f32_e32 v23, v11, v8
	v_add_f32_e32 v9, v9, v22
	;; [unrolled: 1-line block ×4, first 2 shown]
	v_fmac_f32_e32 v18, 0x3ee1c552, v2
	v_fmac_f32_e32 v19, 0x3ee1c552, v3
	;; [unrolled: 1-line block ×6, first 2 shown]
	v_lshl_add_u32 v41, v14, 3, v46
	v_add_f32_e32 v2, v17, v19
	v_sub_f32_e32 v3, v23, v18
	v_add_f32_e32 v4, v21, v11
	v_sub_f32_e32 v5, v12, v20
	v_sub_f32_e32 v6, v9, v16
	v_add_f32_e32 v7, v13, v10
	v_add_f32_e32 v8, v16, v9
	v_sub_f32_e32 v9, v10, v13
	v_sub_f32_e32 v10, v11, v21
	v_add_f32_e32 v11, v20, v12
	v_sub_f32_e32 v12, v17, v19
	v_add_f32_e32 v13, v18, v23
	ds_write_b64 v41, v[0:1]
	ds_write2_b64 v41, v[2:3], v[4:5] offset0:1 offset1:2
	ds_write2_b64 v41, v[6:7], v[8:9] offset0:3 offset1:4
	;; [unrolled: 1-line block ×3, first 2 shown]
	v_mov_b32_e32 v0, 37
	v_mul_lo_u16_sdwa v0, v40, v0 dst_sel:DWORD dst_unused:UNUSED_PAD src0_sel:BYTE_0 src1_sel:DWORD
	v_sub_u16_sdwa v1, v40, v0 dst_sel:DWORD dst_unused:UNUSED_PAD src0_sel:DWORD src1_sel:BYTE_1
	v_lshrrev_b16_e32 v1, 1, v1
	v_and_b32_e32 v1, 0x7f, v1
	v_add_u16_sdwa v0, v1, v0 dst_sel:DWORD dst_unused:UNUSED_PAD src0_sel:DWORD src1_sel:BYTE_1
	v_lshrrev_b16_e32 v47, 2, v0
	v_mul_lo_u16_e32 v0, 7, v47
	v_sub_u16_e32 v48, v40, v0
	v_mov_b32_e32 v0, 6
	v_mul_u32_u24_sdwa v0, v48, v0 dst_sel:DWORD dst_unused:UNUSED_PAD src0_sel:BYTE_0 src1_sel:DWORD
	v_lshlrev_b32_e32 v12, 3, v0
	s_waitcnt lgkmcnt(0)
	s_barrier
	global_load_dwordx4 v[8:11], v12, s[10:11]
	global_load_dwordx4 v[4:7], v12, s[10:11] offset:16
	global_load_dwordx4 v[0:3], v12, s[10:11] offset:32
	ds_read2_b64 v[12:15], v39 offset1:49
	ds_read2_b64 v[16:19], v39 offset0:98 offset1:147
	ds_read2_b64 v[20:23], v39 offset0:196 offset1:245
	ds_read_b64 v[43:44], v39 offset:2352
	s_waitcnt vmcnt(0) lgkmcnt(0)
	s_barrier
	v_mul_f32_e32 v45, v15, v9
	v_fma_f32 v45, v14, v8, -v45
	v_mul_f32_e32 v14, v14, v9
	v_fmac_f32_e32 v14, v15, v8
	v_mul_f32_e32 v15, v17, v11
	v_fma_f32 v15, v16, v10, -v15
	v_mul_f32_e32 v16, v16, v11
	v_fmac_f32_e32 v16, v17, v10
	;; [unrolled: 4-line block ×6, first 2 shown]
	v_add_f32_e32 v44, v45, v23
	v_add_f32_e32 v49, v14, v43
	v_sub_f32_e32 v14, v14, v43
	v_add_f32_e32 v43, v15, v21
	v_sub_f32_e32 v23, v45, v23
	v_add_f32_e32 v45, v16, v22
	v_sub_f32_e32 v15, v15, v21
	v_add_f32_e32 v21, v17, v19
	v_sub_f32_e32 v17, v19, v17
	v_add_f32_e32 v19, v43, v44
	v_sub_f32_e32 v16, v16, v22
	v_add_f32_e32 v22, v18, v20
	v_sub_f32_e32 v18, v20, v18
	v_add_f32_e32 v20, v45, v49
	v_add_f32_e32 v19, v21, v19
	;; [unrolled: 1-line block ×4, first 2 shown]
	v_sub_f32_e32 v50, v43, v44
	v_sub_f32_e32 v51, v45, v49
	;; [unrolled: 1-line block ×6, first 2 shown]
	v_add_f32_e32 v52, v17, v15
	v_add_f32_e32 v53, v18, v16
	v_sub_f32_e32 v54, v17, v15
	v_sub_f32_e32 v55, v18, v16
	;; [unrolled: 1-line block ×4, first 2 shown]
	v_add_f32_e32 v13, v20, v13
	v_mov_b32_e32 v56, v12
	v_sub_f32_e32 v17, v23, v17
	v_sub_f32_e32 v18, v14, v18
	v_add_f32_e32 v21, v52, v23
	v_add_f32_e32 v14, v53, v14
	v_mul_f32_e32 v22, 0x3f4a47b2, v44
	v_mul_f32_e32 v23, 0x3f4a47b2, v49
	;; [unrolled: 1-line block ×8, first 2 shown]
	v_fmac_f32_e32 v56, 0xbf955555, v19
	v_mov_b32_e32 v19, v13
	v_fmac_f32_e32 v19, 0xbf955555, v20
	v_fma_f32 v20, v50, s13, -v44
	v_fma_f32 v44, v51, s13, -v49
	;; [unrolled: 1-line block ×3, first 2 shown]
	v_fmac_f32_e32 v22, 0x3d64c772, v43
	v_fma_f32 v43, v51, s12, -v23
	v_fmac_f32_e32 v23, 0x3d64c772, v45
	v_fma_f32 v45, v15, s14, -v52
	v_fmac_f32_e32 v54, 0xbeae86e6, v17
	v_fmac_f32_e32 v55, 0xbeae86e6, v18
	;; [unrolled: 1-line block ×3, first 2 shown]
	v_add_f32_e32 v51, v22, v56
	v_add_f32_e32 v57, v23, v19
	;; [unrolled: 1-line block ×5, first 2 shown]
	v_fmac_f32_e32 v45, 0x3ee1c552, v21
	v_fmac_f32_e32 v54, 0x3ee1c552, v21
	;; [unrolled: 1-line block ×3, first 2 shown]
	v_fma_f32 v50, v16, s14, -v53
	v_fmac_f32_e32 v53, 0x3eae86e6, v18
	v_fmac_f32_e32 v52, 0x3ee1c552, v21
	v_add_f32_e32 v16, v55, v23
	v_sub_f32_e32 v17, v43, v54
	v_add_f32_e32 v19, v45, v22
	v_sub_f32_e32 v21, v22, v45
	v_sub_f32_e32 v22, v23, v55
	v_add_f32_e32 v23, v54, v43
	v_mul_u32_u24_e32 v43, 49, v47
	v_fmac_f32_e32 v53, 0x3ee1c552, v14
	v_add_u32_sdwa v43, v43, v48 dst_sel:DWORD dst_unused:UNUSED_PAD src0_sel:DWORD src1_sel:BYTE_0
	v_add_f32_e32 v20, v20, v56
	v_fmac_f32_e32 v50, 0x3ee1c552, v14
	v_add_f32_e32 v14, v53, v51
	v_sub_f32_e32 v15, v57, v52
	v_sub_f32_e32 v44, v51, v53
	v_add_f32_e32 v45, v52, v57
	v_lshl_add_u32 v43, v43, 3, v46
	v_sub_f32_e32 v18, v20, v50
	v_add_f32_e32 v20, v50, v20
	ds_write2_b64 v43, v[12:13], v[14:15] offset1:7
	ds_write2_b64 v43, v[16:17], v[18:19] offset0:14 offset1:21
	ds_write2_b64 v43, v[20:21], v[22:23] offset0:28 offset1:35
	ds_write_b64 v43, v[44:45] offset:336
	v_mad_u64_u32 v[44:45], s[10:11], v40, 48, s[10:11]
	s_waitcnt lgkmcnt(0)
	s_barrier
	global_load_dwordx4 v[20:23], v[44:45], off offset:336
	global_load_dwordx4 v[16:19], v[44:45], off offset:352
	;; [unrolled: 1-line block ×3, first 2 shown]
	ds_read2_b64 v[44:47], v39 offset0:98 offset1:147
	ds_read2_b64 v[48:51], v39 offset0:196 offset1:245
	ds_read_b64 v[52:53], v39 offset:2352
	s_waitcnt vmcnt(2) lgkmcnt(2)
	v_mul_f32_e32 v54, v45, v23
	v_fma_f32 v54, v44, v22, -v54
	v_mul_f32_e32 v55, v44, v23
	s_waitcnt vmcnt(1)
	v_mul_f32_e32 v44, v47, v17
	v_fma_f32 v56, v46, v16, -v44
	s_waitcnt lgkmcnt(1)
	v_mul_f32_e32 v44, v49, v19
	v_mul_f32_e32 v57, v46, v17
	v_fma_f32 v58, v48, v18, -v44
	v_mul_f32_e32 v48, v48, v19
	s_waitcnt vmcnt(0)
	v_mul_f32_e32 v44, v51, v13
	v_fmac_f32_e32 v55, v45, v22
	v_fmac_f32_e32 v57, v47, v16
	;; [unrolled: 1-line block ×3, first 2 shown]
	v_fma_f32 v49, v50, v12, -v44
	ds_read2_b64 v[44:47], v39 offset1:49
	v_mul_f32_e32 v50, v50, v13
	v_fmac_f32_e32 v50, v51, v12
	s_waitcnt lgkmcnt(1)
	v_mul_f32_e32 v51, v53, v15
	v_fma_f32 v51, v52, v14, -v51
	v_mul_f32_e32 v52, v52, v15
	v_fmac_f32_e32 v52, v53, v14
	s_waitcnt lgkmcnt(0)
	v_mul_f32_e32 v53, v47, v21
	v_fma_f32 v53, v46, v20, -v53
	v_mul_f32_e32 v46, v46, v21
	v_fmac_f32_e32 v46, v47, v20
	v_add_f32_e32 v59, v53, v51
	v_add_f32_e32 v47, v54, v49
	;; [unrolled: 1-line block ×12, first 2 shown]
	v_sub_f32_e32 v51, v53, v51
	v_sub_f32_e32 v52, v46, v52
	;; [unrolled: 1-line block ×6, first 2 shown]
	v_mov_b32_e32 v54, v44
	v_fmac_f32_e32 v54, 0xbf955555, v61
	v_mov_b32_e32 v55, v45
	v_sub_f32_e32 v56, v47, v59
	v_sub_f32_e32 v57, v60, v47
	;; [unrolled: 1-line block ×4, first 2 shown]
	v_add_f32_e32 v47, v50, v46
	v_sub_f32_e32 v48, v50, v46
	v_sub_f32_e32 v63, v46, v51
	v_add_f32_e32 v46, v53, v49
	v_sub_f32_e32 v66, v49, v52
	v_sub_f32_e32 v59, v59, v60
	v_fmac_f32_e32 v55, 0xbf955555, v65
	v_sub_f32_e32 v65, v53, v49
	v_add_f32_e32 v68, v46, v52
	v_sub_f32_e32 v60, v62, v64
	v_sub_f32_e32 v64, v52, v53
	v_mul_f32_e32 v59, 0x3f4a47b2, v59
	v_mul_f32_e32 v52, 0xbf5ff5aa, v66
	v_add_f32_e32 v67, v47, v51
	v_mul_f32_e32 v69, 0xbf08b237, v48
	v_mul_f32_e32 v65, 0xbf08b237, v65
	;; [unrolled: 1-line block ×4, first 2 shown]
	v_sub_f32_e32 v62, v51, v50
	v_mul_f32_e32 v60, 0x3f4a47b2, v60
	v_mul_f32_e32 v53, 0xbf5ff5aa, v63
	v_fma_f32 v50, v56, s12, -v59
	v_fmac_f32_e32 v52, 0xbeae86e6, v64
	v_fma_f32 v46, v56, s13, -v46
	v_fma_f32 v47, v58, s13, -v47
	;; [unrolled: 1-line block ×5, first 2 shown]
	v_fmac_f32_e32 v53, 0xbeae86e6, v62
	v_add_f32_e32 v56, v50, v54
	v_fmac_f32_e32 v52, 0x3ee1c552, v68
	v_fmac_f32_e32 v59, 0x3d64c772, v57
	v_fmac_f32_e32 v60, 0x3d64c772, v61
	v_fmac_f32_e32 v69, 0x3eae86e6, v62
	v_fmac_f32_e32 v65, 0x3eae86e6, v64
	v_add_f32_e32 v48, v46, v54
	v_add_f32_e32 v49, v47, v55
	v_fmac_f32_e32 v70, 0x3ee1c552, v67
	v_fmac_f32_e32 v71, 0x3ee1c552, v68
	v_add_f32_e32 v58, v51, v55
	v_fmac_f32_e32 v53, 0x3ee1c552, v67
	v_add_f32_e32 v50, v52, v56
	v_sub_f32_e32 v52, v56, v52
	v_add_f32_e32 v56, v59, v54
	v_add_f32_e32 v57, v60, v55
	v_fmac_f32_e32 v69, 0x3ee1c552, v67
	v_fmac_f32_e32 v65, 0x3ee1c552, v68
	v_sub_f32_e32 v46, v48, v71
	v_add_f32_e32 v47, v70, v49
	v_add_f32_e32 v48, v71, v48
	v_sub_f32_e32 v49, v49, v70
	v_sub_f32_e32 v51, v58, v53
	v_add_f32_e32 v53, v53, v58
	v_add_f32_e32 v54, v65, v56
	v_sub_f32_e32 v55, v57, v69
	v_sub_f32_e32 v56, v56, v65
	v_add_f32_e32 v57, v69, v57
	ds_write2_b64 v39, v[44:45], v[54:55] offset1:49
	ds_write2_b64 v39, v[50:51], v[46:47] offset0:98 offset1:147
	ds_write2_b64 v39, v[48:49], v[52:53] offset0:196 offset1:245
	ds_write_b64 v39, v[56:57] offset:2352
	s_waitcnt lgkmcnt(0)
	s_barrier
	global_load_dwordx2 v[48:49], v42, s[8:9] offset:2744
	global_load_dwordx2 v[52:53], v42, s[6:7] offset:392
	;; [unrolled: 1-line block ×7, first 2 shown]
	ds_read2_b64 v[44:47], v39 offset1:49
	s_mov_b32 s6, 0xbf5ff5aa
	s_waitcnt vmcnt(6) lgkmcnt(0)
	v_mul_f32_e32 v42, v45, v49
	v_mul_f32_e32 v65, v44, v49
	v_fma_f32 v64, v44, v48, -v42
	v_fmac_f32_e32 v65, v45, v48
	ds_read2_b64 v[48:51], v39 offset0:98 offset1:147
	s_waitcnt vmcnt(5)
	v_mul_f32_e32 v42, v47, v53
	v_mul_f32_e32 v45, v46, v53
	v_fma_f32 v44, v46, v52, -v42
	v_fmac_f32_e32 v45, v47, v52
	ds_write2_b64 v39, v[64:65], v[44:45] offset1:49
	ds_read2_b64 v[44:47], v39 offset0:196 offset1:245
	s_waitcnt vmcnt(4) lgkmcnt(2)
	v_mul_f32_e32 v42, v49, v55
	v_mul_f32_e32 v53, v48, v55
	v_fma_f32 v52, v48, v54, -v42
	v_fmac_f32_e32 v53, v49, v54
	s_waitcnt vmcnt(3)
	v_mul_f32_e32 v42, v51, v57
	v_mul_f32_e32 v49, v50, v57
	v_fma_f32 v48, v50, v56, -v42
	v_fmac_f32_e32 v49, v51, v56
	ds_write2_b64 v39, v[52:53], v[48:49] offset0:98 offset1:147
	s_waitcnt vmcnt(2) lgkmcnt(1)
	v_mul_f32_e32 v42, v45, v59
	v_mul_f32_e32 v49, v44, v59
	v_fma_f32 v48, v44, v58, -v42
	v_fmac_f32_e32 v49, v45, v58
	ds_read_b64 v[44:45], v39 offset:2352
	s_waitcnt vmcnt(1)
	v_mul_f32_e32 v42, v47, v61
	v_mul_f32_e32 v51, v46, v61
	v_fma_f32 v50, v46, v60, -v42
	v_fmac_f32_e32 v51, v47, v60
	s_waitcnt vmcnt(0) lgkmcnt(0)
	v_mul_f32_e32 v42, v45, v63
	v_mul_f32_e32 v47, v44, v63
	v_fma_f32 v46, v44, v62, -v42
	v_fmac_f32_e32 v47, v45, v62
	ds_write2_b64 v39, v[48:49], v[50:51] offset0:196 offset1:245
	ds_write_b64 v39, v[46:47] offset:2352
	s_waitcnt lgkmcnt(0)
	s_barrier
	ds_read2_b64 v[44:47], v39 offset0:98 offset1:147
	ds_read2_b64 v[48:51], v39 offset0:196 offset1:245
	s_waitcnt lgkmcnt(0)
	v_add_f32_e32 v42, v44, v50
	v_add_f32_e32 v54, v45, v51
	v_sub_f32_e32 v55, v44, v50
	v_sub_f32_e32 v56, v45, v51
	ds_read2_b64 v[50:53], v39 offset1:49
	ds_read_b64 v[44:45], v39 offset:2352
	v_add_f32_e32 v57, v46, v48
	v_sub_f32_e32 v46, v48, v46
	v_add_f32_e32 v58, v47, v49
	v_sub_f32_e32 v47, v49, v47
	s_waitcnt lgkmcnt(0)
	v_add_f32_e32 v48, v52, v44
	v_add_f32_e32 v49, v53, v45
	v_sub_f32_e32 v52, v52, v44
	v_add_f32_e32 v44, v42, v48
	v_add_f32_e32 v59, v57, v44
	;; [unrolled: 1-line block ×5, first 2 shown]
	v_sub_f32_e32 v50, v42, v48
	v_sub_f32_e32 v48, v48, v57
	;; [unrolled: 1-line block ×3, first 2 shown]
	v_add_f32_e32 v57, v46, v55
	v_sub_f32_e32 v53, v53, v45
	v_add_f32_e32 v45, v60, v51
	v_sub_f32_e32 v51, v54, v49
	v_sub_f32_e32 v49, v49, v58
	;; [unrolled: 1-line block ×6, first 2 shown]
	v_add_f32_e32 v52, v57, v52
	v_add_f32_e32 v57, v47, v56
	v_sub_f32_e32 v61, v47, v56
	v_sub_f32_e32 v47, v53, v47
	;; [unrolled: 1-line block ×3, first 2 shown]
	v_add_f32_e32 v53, v57, v53
	v_mov_b32_e32 v57, v44
	v_fmac_f32_e32 v57, 0xbf955555, v59
	v_mov_b32_e32 v59, v45
	v_fmac_f32_e32 v59, 0xbf955555, v60
	v_mul_f32_e32 v48, 0x3f4a47b2, v48
	v_mul_f32_e32 v60, 0x3d64c772, v42
	v_fma_f32 v60, v50, s13, -v60
	v_fma_f32 v50, v50, s12, -v48
	v_fmac_f32_e32 v48, 0x3d64c772, v42
	v_mul_f32_e32 v42, 0x3f4a47b2, v49
	v_mul_f32_e32 v49, 0x3d64c772, v54
	v_fma_f32 v49, v51, s13, -v49
	v_fma_f32 v51, v51, s12, -v42
	v_fmac_f32_e32 v42, 0x3d64c772, v54
	v_mul_f32_e32 v58, 0x3f08b237, v58
	v_mul_f32_e32 v54, 0x3f5ff5aa, v55
	;; [unrolled: 1-line block ×4, first 2 shown]
	v_fma_f32 v55, v55, s6, -v58
	v_fmac_f32_e32 v58, 0xbeae86e6, v46
	v_fmac_f32_e32 v54, 0x3eae86e6, v46
	v_fma_f32 v56, v56, s6, -v61
	v_fmac_f32_e32 v61, 0xbeae86e6, v47
	v_fmac_f32_e32 v62, 0x3eae86e6, v47
	v_add_f32_e32 v63, v48, v57
	v_add_f32_e32 v48, v60, v57
	;; [unrolled: 1-line block ×6, first 2 shown]
	v_fmac_f32_e32 v58, 0xbee1c552, v52
	v_fmac_f32_e32 v61, 0xbee1c552, v53
	;; [unrolled: 1-line block ×6, first 2 shown]
	v_sub_f32_e32 v46, v48, v56
	v_add_f32_e32 v47, v55, v49
	v_add_f32_e32 v48, v56, v48
	v_sub_f32_e32 v49, v49, v55
	v_add_f32_e32 v50, v62, v57
	v_sub_f32_e32 v51, v59, v54
	v_sub_f32_e32 v52, v57, v62
	v_add_f32_e32 v53, v54, v59
	v_add_f32_e32 v54, v63, v61
	v_sub_f32_e32 v55, v42, v58
	v_sub_f32_e32 v56, v63, v61
	v_add_f32_e32 v57, v58, v42
	s_barrier
	ds_write_b64 v41, v[44:45]
	ds_write2_b64 v41, v[54:55], v[50:51] offset0:1 offset1:2
	ds_write2_b64 v41, v[46:47], v[48:49] offset0:3 offset1:4
	;; [unrolled: 1-line block ×3, first 2 shown]
	s_waitcnt lgkmcnt(0)
	s_barrier
	ds_read2_b64 v[44:47], v39 offset1:49
	ds_read2_b64 v[48:51], v39 offset0:98 offset1:147
	ds_read2_b64 v[52:55], v39 offset0:196 offset1:245
	s_waitcnt lgkmcnt(2)
	v_mul_f32_e32 v41, v9, v47
	v_mul_f32_e32 v9, v9, v46
	v_fmac_f32_e32 v41, v8, v46
	v_fma_f32 v42, v8, v47, -v9
	s_waitcnt lgkmcnt(1)
	v_mul_f32_e32 v46, v11, v49
	v_mul_f32_e32 v8, v11, v48
	v_fmac_f32_e32 v46, v10, v48
	v_fma_f32 v10, v10, v49, -v8
	ds_read_b64 v[8:9], v39 offset:2352
	v_mul_f32_e32 v11, v5, v51
	v_mul_f32_e32 v5, v5, v50
	v_fmac_f32_e32 v11, v4, v50
	v_fma_f32 v4, v4, v51, -v5
	s_waitcnt lgkmcnt(1)
	v_mul_f32_e32 v5, v7, v53
	v_mul_f32_e32 v7, v7, v52
	v_fmac_f32_e32 v5, v6, v52
	v_fma_f32 v6, v6, v53, -v7
	v_mul_f32_e32 v7, v1, v55
	v_mul_f32_e32 v1, v1, v54
	v_fmac_f32_e32 v7, v0, v54
	v_fma_f32 v0, v0, v55, -v1
	s_waitcnt lgkmcnt(0)
	v_mul_f32_e32 v1, v3, v9
	v_fmac_f32_e32 v1, v2, v8
	v_mul_f32_e32 v3, v3, v8
	v_fma_f32 v2, v2, v9, -v3
	v_add_f32_e32 v3, v41, v1
	v_add_f32_e32 v9, v46, v7
	;; [unrolled: 1-line block ×3, first 2 shown]
	v_sub_f32_e32 v1, v41, v1
	v_sub_f32_e32 v2, v42, v2
	v_add_f32_e32 v41, v10, v0
	v_sub_f32_e32 v0, v10, v0
	v_add_f32_e32 v10, v11, v5
	v_add_f32_e32 v42, v4, v6
	v_sub_f32_e32 v4, v6, v4
	v_add_f32_e32 v6, v9, v3
	v_sub_f32_e32 v7, v46, v7
	v_sub_f32_e32 v5, v5, v11
	v_add_f32_e32 v11, v41, v8
	v_add_f32_e32 v6, v10, v6
	v_sub_f32_e32 v46, v9, v3
	v_sub_f32_e32 v3, v3, v10
	;; [unrolled: 1-line block ×3, first 2 shown]
	v_add_f32_e32 v48, v5, v7
	v_add_f32_e32 v49, v4, v0
	v_sub_f32_e32 v51, v4, v0
	v_sub_f32_e32 v52, v0, v2
	v_add_f32_e32 v10, v42, v11
	v_add_f32_e32 v0, v6, v44
	v_sub_f32_e32 v47, v41, v8
	v_sub_f32_e32 v8, v8, v42
	;; [unrolled: 1-line block ×6, first 2 shown]
	v_add_f32_e32 v11, v48, v1
	v_add_f32_e32 v1, v10, v45
	v_mul_f32_e32 v48, 0x3f08b237, v51
	v_mov_b32_e32 v51, v0
	v_sub_f32_e32 v4, v2, v4
	v_mul_f32_e32 v3, 0x3f4a47b2, v3
	v_mul_f32_e32 v8, 0x3f4a47b2, v8
	;; [unrolled: 1-line block ×5, first 2 shown]
	v_fmac_f32_e32 v51, 0xbf955555, v6
	v_mov_b32_e32 v6, v1
	v_add_f32_e32 v2, v49, v2
	v_mul_f32_e32 v49, 0x3f5ff5aa, v7
	v_mul_f32_e32 v50, 0x3f5ff5aa, v52
	v_fmac_f32_e32 v6, 0xbf955555, v10
	v_fma_f32 v10, v46, s13, -v42
	v_fma_f32 v42, v47, s13, -v44
	;; [unrolled: 1-line block ×3, first 2 shown]
	v_fmac_f32_e32 v3, 0x3d64c772, v9
	v_fma_f32 v9, v47, s12, -v8
	v_fmac_f32_e32 v8, 0x3d64c772, v41
	v_fma_f32 v41, v7, s6, -v45
	;; [unrolled: 2-line block ×3, first 2 shown]
	v_fmac_f32_e32 v48, 0xbeae86e6, v4
	v_fmac_f32_e32 v49, 0x3eae86e6, v5
	v_fmac_f32_e32 v50, 0x3eae86e6, v4
	v_add_f32_e32 v47, v3, v51
	v_add_f32_e32 v52, v8, v6
	v_fmac_f32_e32 v45, 0xbee1c552, v11
	v_fmac_f32_e32 v48, 0xbee1c552, v2
	v_add_f32_e32 v8, v10, v51
	v_add_f32_e32 v10, v42, v6
	;; [unrolled: 1-line block ×4, first 2 shown]
	v_fmac_f32_e32 v41, 0xbee1c552, v11
	v_fmac_f32_e32 v46, 0xbee1c552, v2
	;; [unrolled: 1-line block ×4, first 2 shown]
	v_add_f32_e32 v2, v48, v47
	v_sub_f32_e32 v3, v52, v45
	v_add_f32_e32 v4, v50, v42
	v_sub_f32_e32 v5, v44, v49
	v_sub_f32_e32 v6, v8, v46
	v_add_f32_e32 v7, v41, v10
	v_add_f32_e32 v8, v46, v8
	v_sub_f32_e32 v9, v10, v41
	v_sub_f32_e32 v10, v42, v50
	v_add_f32_e32 v11, v49, v44
	v_sub_f32_e32 v41, v47, v48
	v_add_f32_e32 v42, v45, v52
	s_barrier
	ds_write2_b64 v43, v[0:1], v[2:3] offset1:7
	ds_write2_b64 v43, v[4:5], v[6:7] offset0:14 offset1:21
	ds_write2_b64 v43, v[8:9], v[10:11] offset0:28 offset1:35
	ds_write_b64 v43, v[41:42] offset:336
	s_waitcnt lgkmcnt(0)
	s_barrier
	ds_read2_b64 v[0:3], v39 offset1:49
	ds_read2_b64 v[4:7], v39 offset0:98 offset1:147
	ds_read2_b64 v[8:11], v39 offset0:196 offset1:245
	ds_read_b64 v[43:44], v39 offset:2352
	v_mad_u64_u32 v[41:42], s[8:9], s2, v24, 0
	s_waitcnt lgkmcnt(3)
	v_mul_f32_e32 v45, v21, v3
	v_fmac_f32_e32 v45, v20, v2
	v_mul_f32_e32 v2, v21, v2
	v_fma_f32 v2, v20, v3, -v2
	s_waitcnt lgkmcnt(2)
	v_mul_f32_e32 v3, v23, v5
	v_fmac_f32_e32 v3, v22, v4
	v_mul_f32_e32 v4, v23, v4
	v_fma_f32 v4, v22, v5, -v4
	v_mul_f32_e32 v5, v17, v7
	v_fmac_f32_e32 v5, v16, v6
	v_mul_f32_e32 v6, v17, v6
	v_fma_f32 v6, v16, v7, -v6
	s_waitcnt lgkmcnt(1)
	v_mul_f32_e32 v7, v19, v9
	v_fmac_f32_e32 v7, v18, v8
	v_mul_f32_e32 v8, v19, v8
	v_fma_f32 v8, v18, v9, -v8
	v_mul_f32_e32 v9, v13, v11
	v_fmac_f32_e32 v9, v12, v10
	v_mul_f32_e32 v10, v13, v10
	v_fma_f32 v10, v12, v11, -v10
	s_waitcnt lgkmcnt(0)
	v_mul_f32_e32 v11, v15, v44
	v_mul_f32_e32 v12, v15, v43
	v_fmac_f32_e32 v11, v14, v43
	v_fma_f32 v12, v14, v44, -v12
	v_add_f32_e32 v13, v45, v11
	v_add_f32_e32 v14, v2, v12
	v_sub_f32_e32 v2, v2, v12
	v_add_f32_e32 v12, v3, v9
	v_add_f32_e32 v15, v4, v10
	v_sub_f32_e32 v3, v3, v9
	v_add_f32_e32 v9, v5, v7
	v_sub_f32_e32 v5, v7, v5
	v_add_f32_e32 v7, v12, v13
	v_sub_f32_e32 v4, v4, v10
	v_add_f32_e32 v10, v6, v8
	v_sub_f32_e32 v6, v8, v6
	v_add_f32_e32 v8, v15, v14
	v_add_f32_e32 v7, v9, v7
	;; [unrolled: 1-line block ×4, first 2 shown]
	v_sub_f32_e32 v11, v45, v11
	v_sub_f32_e32 v16, v12, v13
	;; [unrolled: 1-line block ×7, first 2 shown]
	v_add_f32_e32 v18, v5, v3
	v_add_f32_e32 v19, v6, v4
	v_sub_f32_e32 v20, v5, v3
	v_sub_f32_e32 v21, v6, v4
	v_add_f32_e32 v1, v8, v1
	v_mov_b32_e32 v22, v0
	v_sub_f32_e32 v5, v11, v5
	v_sub_f32_e32 v6, v2, v6
	;; [unrolled: 1-line block ×4, first 2 shown]
	v_add_f32_e32 v9, v18, v11
	v_add_f32_e32 v2, v19, v2
	v_mul_f32_e32 v10, 0x3f4a47b2, v13
	v_mul_f32_e32 v11, 0x3f4a47b2, v14
	;; [unrolled: 1-line block ×6, first 2 shown]
	v_fmac_f32_e32 v22, 0xbf955555, v7
	v_mov_b32_e32 v7, v1
	v_mul_f32_e32 v20, 0x3f5ff5aa, v3
	v_mul_f32_e32 v21, 0x3f5ff5aa, v4
	v_fmac_f32_e32 v7, 0xbf955555, v8
	v_fma_f32 v8, v16, s13, -v13
	v_fma_f32 v13, v17, s13, -v14
	;; [unrolled: 1-line block ×3, first 2 shown]
	v_fmac_f32_e32 v10, 0x3d64c772, v12
	v_fma_f32 v12, v17, s12, -v11
	v_fmac_f32_e32 v11, 0x3d64c772, v15
	v_fma_f32 v15, v3, s6, -v18
	v_fmac_f32_e32 v18, 0xbeae86e6, v5
	v_fma_f32 v16, v4, s6, -v19
	v_fmac_f32_e32 v19, 0xbeae86e6, v6
	v_fmac_f32_e32 v20, 0x3eae86e6, v5
	;; [unrolled: 1-line block ×3, first 2 shown]
	v_add_f32_e32 v17, v10, v22
	v_add_f32_e32 v23, v11, v7
	v_fmac_f32_e32 v18, 0xbee1c552, v9
	v_fmac_f32_e32 v19, 0xbee1c552, v2
	v_add_f32_e32 v8, v8, v22
	v_add_f32_e32 v10, v13, v7
	;; [unrolled: 1-line block ×4, first 2 shown]
	v_fmac_f32_e32 v15, 0xbee1c552, v9
	v_fmac_f32_e32 v16, 0xbee1c552, v2
	v_fmac_f32_e32 v20, 0xbee1c552, v9
	v_fmac_f32_e32 v21, 0xbee1c552, v2
	v_add_f32_e32 v2, v19, v17
	v_sub_f32_e32 v3, v23, v18
	v_add_f32_e32 v4, v21, v11
	v_sub_f32_e32 v5, v12, v20
	v_sub_f32_e32 v6, v8, v16
	v_add_f32_e32 v7, v15, v10
	v_add_f32_e32 v8, v16, v8
	v_sub_f32_e32 v9, v10, v15
	v_sub_f32_e32 v10, v11, v21
	v_add_f32_e32 v11, v20, v12
	v_sub_f32_e32 v12, v17, v19
	v_add_f32_e32 v13, v18, v23
	ds_write2_b64 v39, v[0:1], v[2:3] offset1:49
	ds_write2_b64 v39, v[4:5], v[6:7] offset0:98 offset1:147
	ds_write2_b64 v39, v[8:9], v[10:11] offset0:196 offset1:245
	ds_write_b64 v39, v[12:13] offset:2352
	s_waitcnt lgkmcnt(0)
	s_barrier
	ds_read2_b64 v[0:3], v39 offset1:49
	s_load_dwordx2 s[6:7], s[4:5], 0x38
	s_mov_b32 s4, 0x515a4f1d
	s_mov_b32 s5, 0x3f67e225
	v_mad_u64_u32 v[7:8], s[8:9], s0, v40, 0
	s_waitcnt lgkmcnt(0)
	v_mul_f32_e32 v5, v36, v1
	v_fmac_f32_e32 v5, v35, v0
	v_cvt_f64_f32_e32 v[5:6], v5
	v_mul_f32_e32 v0, v36, v0
	v_fma_f32 v0, v35, v1, -v0
	v_cvt_f64_f32_e32 v[0:1], v0
	v_mul_f64 v[5:6], v[5:6], s[4:5]
	v_mov_b32_e32 v4, v42
	v_mul_f64 v[0:1], v[0:1], s[4:5]
	v_mad_u64_u32 v[9:10], s[2:3], s3, v24, v[4:5]
	v_mov_b32_e32 v4, v8
	v_mad_u64_u32 v[10:11], s[2:3], s1, v40, v[4:5]
	v_mov_b32_e32 v42, v9
	v_mul_f32_e32 v9, v38, v3
	v_fmac_f32_e32 v9, v37, v2
	v_mov_b32_e32 v8, v10
	v_cvt_f64_f32_e32 v[9:10], v9
	v_cvt_f32_f64_e32 v4, v[5:6]
	v_cvt_f32_f64_e32 v5, v[0:1]
	v_lshlrev_b64 v[0:1], 3, v[41:42]
	v_mul_f32_e32 v2, v38, v2
	v_fma_f32 v2, v37, v3, -v2
	v_mov_b32_e32 v6, s7
	v_cvt_f64_f32_e32 v[2:3], v2
	v_add_co_u32_e32 v11, vcc, s6, v0
	v_addc_co_u32_e32 v12, vcc, v6, v1, vcc
	v_lshlrev_b64 v[0:1], 3, v[7:8]
	v_mul_f64 v[6:7], v[9:10], s[4:5]
	v_add_co_u32_e32 v10, vcc, v11, v0
	v_mul_f64 v[8:9], v[2:3], s[4:5]
	v_addc_co_u32_e32 v11, vcc, v12, v1, vcc
	ds_read2_b64 v[0:3], v39 offset0:98 offset1:147
	global_store_dwordx2 v[10:11], v[4:5], off
	v_cvt_f32_f64_e32 v4, v[6:7]
	s_mulk_i32 s1, 0x188
	s_mul_hi_u32 s2, s0, 0x188
	s_waitcnt lgkmcnt(0)
	v_mul_f32_e32 v6, v34, v1
	v_fmac_f32_e32 v6, v33, v0
	v_mul_f32_e32 v0, v34, v0
	v_fma_f32 v0, v33, v1, -v0
	v_cvt_f64_f32_e32 v[0:1], v0
	v_cvt_f64_f32_e32 v[6:7], v6
	v_cvt_f32_f64_e32 v5, v[8:9]
	s_add_i32 s1, s2, s1
	v_mul_f64 v[0:1], v[0:1], s[4:5]
	v_mul_f64 v[6:7], v[6:7], s[4:5]
	s_mulk_i32 s0, 0x188
	v_mov_b32_e32 v9, s1
	v_add_co_u32_e32 v8, vcc, s0, v10
	v_addc_co_u32_e32 v9, vcc, v11, v9, vcc
	global_store_dwordx2 v[8:9], v[4:5], off
	v_cvt_f32_f64_e32 v5, v[0:1]
	v_mul_f32_e32 v0, v32, v3
	v_fmac_f32_e32 v0, v31, v2
	v_cvt_f32_f64_e32 v4, v[6:7]
	v_cvt_f64_f32_e32 v[6:7], v0
	v_mul_f32_e32 v0, v32, v2
	v_fma_f32 v0, v31, v3, -v0
	v_cvt_f64_f32_e32 v[10:11], v0
	ds_read2_b64 v[0:3], v39 offset0:196 offset1:245
	v_mov_b32_e32 v12, s1
	v_add_co_u32_e32 v8, vcc, s0, v8
	v_addc_co_u32_e32 v9, vcc, v9, v12, vcc
	global_store_dwordx2 v[8:9], v[4:5], off
	v_mul_f64 v[4:5], v[6:7], s[4:5]
	v_mul_f64 v[6:7], v[10:11], s[4:5]
	s_waitcnt lgkmcnt(0)
	v_mul_f32_e32 v10, v30, v1
	v_fmac_f32_e32 v10, v29, v0
	v_mul_f32_e32 v0, v30, v0
	v_fma_f32 v0, v29, v1, -v0
	v_cvt_f64_f32_e32 v[0:1], v0
	v_cvt_f64_f32_e32 v[10:11], v10
	v_cvt_f32_f64_e32 v4, v[4:5]
	v_cvt_f32_f64_e32 v5, v[6:7]
	v_mul_f64 v[0:1], v[0:1], s[4:5]
	v_mul_f64 v[6:7], v[10:11], s[4:5]
	v_mov_b32_e32 v10, s1
	v_add_co_u32_e32 v8, vcc, s0, v8
	v_addc_co_u32_e32 v9, vcc, v9, v10, vcc
	global_store_dwordx2 v[8:9], v[4:5], off
	v_cvt_f32_f64_e32 v5, v[0:1]
	v_mul_f32_e32 v0, v28, v3
	v_fmac_f32_e32 v0, v27, v2
	v_mul_f32_e32 v2, v28, v2
	v_fma_f32 v2, v27, v3, -v2
	v_cvt_f32_f64_e32 v4, v[6:7]
	v_cvt_f64_f32_e32 v[0:1], v0
	v_cvt_f64_f32_e32 v[2:3], v2
	ds_read_b64 v[6:7], v39 offset:2352
	v_add_co_u32_e32 v8, vcc, s0, v8
	v_addc_co_u32_e32 v9, vcc, v9, v10, vcc
	v_mul_f64 v[0:1], v[0:1], s[4:5]
	v_mul_f64 v[2:3], v[2:3], s[4:5]
	global_store_dwordx2 v[8:9], v[4:5], off
	s_waitcnt lgkmcnt(0)
	v_mul_f32_e32 v4, v26, v7
	v_fmac_f32_e32 v4, v25, v6
	v_mul_f32_e32 v6, v26, v6
	v_fma_f32 v6, v25, v7, -v6
	v_cvt_f64_f32_e32 v[4:5], v4
	v_cvt_f64_f32_e32 v[6:7], v6
	v_cvt_f32_f64_e32 v0, v[0:1]
	v_cvt_f32_f64_e32 v1, v[2:3]
	v_mul_f64 v[2:3], v[4:5], s[4:5]
	v_mul_f64 v[4:5], v[6:7], s[4:5]
	v_mov_b32_e32 v7, s1
	v_add_co_u32_e32 v6, vcc, s0, v8
	v_addc_co_u32_e32 v7, vcc, v9, v7, vcc
	global_store_dwordx2 v[6:7], v[0:1], off
	v_cvt_f32_f64_e32 v0, v[2:3]
	v_cvt_f32_f64_e32 v1, v[4:5]
	v_mov_b32_e32 v3, s1
	v_add_co_u32_e32 v2, vcc, s0, v6
	v_addc_co_u32_e32 v3, vcc, v7, v3, vcc
	global_store_dwordx2 v[2:3], v[0:1], off
.LBB0_2:
	s_endpgm
	.section	.rodata,"a",@progbits
	.p2align	6, 0x0
	.amdhsa_kernel bluestein_single_back_len343_dim1_sp_op_CI_CI
		.amdhsa_group_segment_fixed_size 13720
		.amdhsa_private_segment_fixed_size 0
		.amdhsa_kernarg_size 104
		.amdhsa_user_sgpr_count 6
		.amdhsa_user_sgpr_private_segment_buffer 1
		.amdhsa_user_sgpr_dispatch_ptr 0
		.amdhsa_user_sgpr_queue_ptr 0
		.amdhsa_user_sgpr_kernarg_segment_ptr 1
		.amdhsa_user_sgpr_dispatch_id 0
		.amdhsa_user_sgpr_flat_scratch_init 0
		.amdhsa_user_sgpr_private_segment_size 0
		.amdhsa_uses_dynamic_stack 0
		.amdhsa_system_sgpr_private_segment_wavefront_offset 0
		.amdhsa_system_sgpr_workgroup_id_x 1
		.amdhsa_system_sgpr_workgroup_id_y 0
		.amdhsa_system_sgpr_workgroup_id_z 0
		.amdhsa_system_sgpr_workgroup_info 0
		.amdhsa_system_vgpr_workitem_id 0
		.amdhsa_next_free_vgpr 72
		.amdhsa_next_free_sgpr 20
		.amdhsa_reserve_vcc 1
		.amdhsa_reserve_flat_scratch 0
		.amdhsa_float_round_mode_32 0
		.amdhsa_float_round_mode_16_64 0
		.amdhsa_float_denorm_mode_32 3
		.amdhsa_float_denorm_mode_16_64 3
		.amdhsa_dx10_clamp 1
		.amdhsa_ieee_mode 1
		.amdhsa_fp16_overflow 0
		.amdhsa_exception_fp_ieee_invalid_op 0
		.amdhsa_exception_fp_denorm_src 0
		.amdhsa_exception_fp_ieee_div_zero 0
		.amdhsa_exception_fp_ieee_overflow 0
		.amdhsa_exception_fp_ieee_underflow 0
		.amdhsa_exception_fp_ieee_inexact 0
		.amdhsa_exception_int_div_zero 0
	.end_amdhsa_kernel
	.text
.Lfunc_end0:
	.size	bluestein_single_back_len343_dim1_sp_op_CI_CI, .Lfunc_end0-bluestein_single_back_len343_dim1_sp_op_CI_CI
                                        ; -- End function
	.section	.AMDGPU.csdata,"",@progbits
; Kernel info:
; codeLenInByte = 5448
; NumSgprs: 24
; NumVgprs: 72
; ScratchSize: 0
; MemoryBound: 0
; FloatMode: 240
; IeeeMode: 1
; LDSByteSize: 13720 bytes/workgroup (compile time only)
; SGPRBlocks: 2
; VGPRBlocks: 17
; NumSGPRsForWavesPerEU: 24
; NumVGPRsForWavesPerEU: 72
; Occupancy: 3
; WaveLimiterHint : 1
; COMPUTE_PGM_RSRC2:SCRATCH_EN: 0
; COMPUTE_PGM_RSRC2:USER_SGPR: 6
; COMPUTE_PGM_RSRC2:TRAP_HANDLER: 0
; COMPUTE_PGM_RSRC2:TGID_X_EN: 1
; COMPUTE_PGM_RSRC2:TGID_Y_EN: 0
; COMPUTE_PGM_RSRC2:TGID_Z_EN: 0
; COMPUTE_PGM_RSRC2:TIDIG_COMP_CNT: 0
	.type	__hip_cuid_cf54fa504aa4e2ea,@object ; @__hip_cuid_cf54fa504aa4e2ea
	.section	.bss,"aw",@nobits
	.globl	__hip_cuid_cf54fa504aa4e2ea
__hip_cuid_cf54fa504aa4e2ea:
	.byte	0                               ; 0x0
	.size	__hip_cuid_cf54fa504aa4e2ea, 1

	.ident	"AMD clang version 19.0.0git (https://github.com/RadeonOpenCompute/llvm-project roc-6.4.0 25133 c7fe45cf4b819c5991fe208aaa96edf142730f1d)"
	.section	".note.GNU-stack","",@progbits
	.addrsig
	.addrsig_sym __hip_cuid_cf54fa504aa4e2ea
	.amdgpu_metadata
---
amdhsa.kernels:
  - .args:
      - .actual_access:  read_only
        .address_space:  global
        .offset:         0
        .size:           8
        .value_kind:     global_buffer
      - .actual_access:  read_only
        .address_space:  global
        .offset:         8
        .size:           8
        .value_kind:     global_buffer
      - .actual_access:  read_only
        .address_space:  global
        .offset:         16
        .size:           8
        .value_kind:     global_buffer
      - .actual_access:  read_only
        .address_space:  global
        .offset:         24
        .size:           8
        .value_kind:     global_buffer
      - .actual_access:  read_only
        .address_space:  global
        .offset:         32
        .size:           8
        .value_kind:     global_buffer
      - .offset:         40
        .size:           8
        .value_kind:     by_value
      - .address_space:  global
        .offset:         48
        .size:           8
        .value_kind:     global_buffer
      - .address_space:  global
        .offset:         56
        .size:           8
        .value_kind:     global_buffer
      - .address_space:  global
        .offset:         64
        .size:           8
        .value_kind:     global_buffer
      - .address_space:  global
        .offset:         72
        .size:           8
        .value_kind:     global_buffer
      - .offset:         80
        .size:           4
        .value_kind:     by_value
      - .address_space:  global
        .offset:         88
        .size:           8
        .value_kind:     global_buffer
      - .address_space:  global
        .offset:         96
        .size:           8
        .value_kind:     global_buffer
    .group_segment_fixed_size: 13720
    .kernarg_segment_align: 8
    .kernarg_segment_size: 104
    .language:       OpenCL C
    .language_version:
      - 2
      - 0
    .max_flat_workgroup_size: 245
    .name:           bluestein_single_back_len343_dim1_sp_op_CI_CI
    .private_segment_fixed_size: 0
    .sgpr_count:     24
    .sgpr_spill_count: 0
    .symbol:         bluestein_single_back_len343_dim1_sp_op_CI_CI.kd
    .uniform_work_group_size: 1
    .uses_dynamic_stack: false
    .vgpr_count:     72
    .vgpr_spill_count: 0
    .wavefront_size: 64
amdhsa.target:   amdgcn-amd-amdhsa--gfx906
amdhsa.version:
  - 1
  - 2
...

	.end_amdgpu_metadata
